;; amdgpu-corpus repo=ROCm/rocFFT kind=compiled arch=gfx950 opt=O3
	.text
	.amdgcn_target "amdgcn-amd-amdhsa--gfx950"
	.amdhsa_code_object_version 6
	.protected	fft_rtc_fwd_len810_factors_3_10_3_3_3_wgs_81_tpt_81_halfLds_dp_ip_CI_unitstride_sbrr_dirReg ; -- Begin function fft_rtc_fwd_len810_factors_3_10_3_3_3_wgs_81_tpt_81_halfLds_dp_ip_CI_unitstride_sbrr_dirReg
	.globl	fft_rtc_fwd_len810_factors_3_10_3_3_3_wgs_81_tpt_81_halfLds_dp_ip_CI_unitstride_sbrr_dirReg
	.p2align	8
	.type	fft_rtc_fwd_len810_factors_3_10_3_3_3_wgs_81_tpt_81_halfLds_dp_ip_CI_unitstride_sbrr_dirReg,@function
fft_rtc_fwd_len810_factors_3_10_3_3_3_wgs_81_tpt_81_halfLds_dp_ip_CI_unitstride_sbrr_dirReg: ; @fft_rtc_fwd_len810_factors_3_10_3_3_3_wgs_81_tpt_81_halfLds_dp_ip_CI_unitstride_sbrr_dirReg
; %bb.0:
	s_load_dwordx2 s[8:9], s[0:1], 0x50
	s_load_dwordx4 s[4:7], s[0:1], 0x0
	s_load_dwordx2 s[10:11], s[0:1], 0x18
	v_mul_u32_u24_e32 v1, 0x32a, v0
	v_add_u32_sdwa v6, s2, v1 dst_sel:DWORD dst_unused:UNUSED_PAD src0_sel:DWORD src1_sel:WORD_1
	v_mov_b32_e32 v4, 0
	s_waitcnt lgkmcnt(0)
	v_cmp_lt_u64_e64 s[2:3], s[6:7], 2
	v_mov_b32_e32 v7, v4
	s_and_b64 vcc, exec, s[2:3]
	v_mov_b64_e32 v[2:3], 0
	s_cbranch_vccnz .LBB0_8
; %bb.1:
	s_load_dwordx2 s[2:3], s[0:1], 0x10
	s_add_u32 s12, s10, 8
	s_addc_u32 s13, s11, 0
	s_mov_b64 s[14:15], 1
	v_mov_b64_e32 v[2:3], 0
	s_waitcnt lgkmcnt(0)
	s_add_u32 s16, s2, 8
	s_addc_u32 s17, s3, 0
.LBB0_2:                                ; =>This Inner Loop Header: Depth=1
	s_load_dwordx2 s[18:19], s[16:17], 0x0
                                        ; implicit-def: $vgpr8_vgpr9
	s_waitcnt lgkmcnt(0)
	v_or_b32_e32 v5, s19, v7
	v_cmp_ne_u64_e32 vcc, 0, v[4:5]
	s_and_saveexec_b64 s[2:3], vcc
	s_xor_b64 s[20:21], exec, s[2:3]
	s_cbranch_execz .LBB0_4
; %bb.3:                                ;   in Loop: Header=BB0_2 Depth=1
	v_cvt_f32_u32_e32 v1, s18
	v_cvt_f32_u32_e32 v5, s19
	s_sub_u32 s2, 0, s18
	s_subb_u32 s3, 0, s19
	v_fmac_f32_e32 v1, 0x4f800000, v5
	v_rcp_f32_e32 v1, v1
	s_nop 0
	v_mul_f32_e32 v1, 0x5f7ffffc, v1
	v_mul_f32_e32 v5, 0x2f800000, v1
	v_trunc_f32_e32 v5, v5
	v_fmac_f32_e32 v1, 0xcf800000, v5
	v_cvt_u32_f32_e32 v5, v5
	v_cvt_u32_f32_e32 v1, v1
	v_mul_lo_u32 v8, s2, v5
	v_mul_hi_u32 v10, s2, v1
	v_mul_lo_u32 v9, s3, v1
	v_add_u32_e32 v10, v10, v8
	v_mul_lo_u32 v12, s2, v1
	v_add_u32_e32 v13, v10, v9
	v_mul_hi_u32 v8, v1, v12
	v_mul_hi_u32 v11, v1, v13
	v_mul_lo_u32 v10, v1, v13
	v_mov_b32_e32 v9, v4
	v_lshl_add_u64 v[8:9], v[8:9], 0, v[10:11]
	v_mul_hi_u32 v11, v5, v12
	v_mul_lo_u32 v12, v5, v12
	v_add_co_u32_e32 v8, vcc, v8, v12
	v_mul_hi_u32 v10, v5, v13
	s_nop 0
	v_addc_co_u32_e32 v8, vcc, v9, v11, vcc
	v_mov_b32_e32 v9, v4
	s_nop 0
	v_addc_co_u32_e32 v11, vcc, 0, v10, vcc
	v_mul_lo_u32 v10, v5, v13
	v_lshl_add_u64 v[8:9], v[8:9], 0, v[10:11]
	v_add_co_u32_e32 v1, vcc, v1, v8
	v_mul_lo_u32 v10, s2, v1
	s_nop 0
	v_addc_co_u32_e32 v5, vcc, v5, v9, vcc
	v_mul_lo_u32 v8, s2, v5
	v_mul_hi_u32 v9, s2, v1
	v_add_u32_e32 v8, v9, v8
	v_mul_lo_u32 v9, s3, v1
	v_add_u32_e32 v12, v8, v9
	v_mul_hi_u32 v14, v5, v10
	v_mul_lo_u32 v15, v5, v10
	v_mul_hi_u32 v9, v1, v12
	v_mul_lo_u32 v8, v1, v12
	v_mul_hi_u32 v10, v1, v10
	v_mov_b32_e32 v11, v4
	v_lshl_add_u64 v[8:9], v[10:11], 0, v[8:9]
	v_add_co_u32_e32 v8, vcc, v8, v15
	v_mul_hi_u32 v13, v5, v12
	s_nop 0
	v_addc_co_u32_e32 v8, vcc, v9, v14, vcc
	v_mul_lo_u32 v10, v5, v12
	s_nop 0
	v_addc_co_u32_e32 v11, vcc, 0, v13, vcc
	v_mov_b32_e32 v9, v4
	v_lshl_add_u64 v[8:9], v[8:9], 0, v[10:11]
	v_add_co_u32_e32 v1, vcc, v1, v8
	v_mul_hi_u32 v10, v6, v1
	s_nop 0
	v_addc_co_u32_e32 v5, vcc, v5, v9, vcc
	v_mad_u64_u32 v[8:9], s[2:3], v6, v5, 0
	v_mov_b32_e32 v11, v4
	v_lshl_add_u64 v[8:9], v[10:11], 0, v[8:9]
	v_mad_u64_u32 v[12:13], s[2:3], v7, v1, 0
	v_add_co_u32_e32 v1, vcc, v8, v12
	v_mad_u64_u32 v[10:11], s[2:3], v7, v5, 0
	s_nop 0
	v_addc_co_u32_e32 v8, vcc, v9, v13, vcc
	v_mov_b32_e32 v9, v4
	s_nop 0
	v_addc_co_u32_e32 v11, vcc, 0, v11, vcc
	v_lshl_add_u64 v[8:9], v[8:9], 0, v[10:11]
	v_mul_lo_u32 v1, s19, v8
	v_mul_lo_u32 v5, s18, v9
	v_mad_u64_u32 v[10:11], s[2:3], s18, v8, 0
	v_add3_u32 v1, v11, v5, v1
	v_sub_u32_e32 v5, v7, v1
	v_mov_b32_e32 v11, s19
	v_sub_co_u32_e32 v14, vcc, v6, v10
	v_lshl_add_u64 v[12:13], v[8:9], 0, 1
	s_nop 0
	v_subb_co_u32_e64 v5, s[2:3], v5, v11, vcc
	v_subrev_co_u32_e64 v10, s[2:3], s18, v14
	v_subb_co_u32_e32 v1, vcc, v7, v1, vcc
	s_nop 0
	v_subbrev_co_u32_e64 v5, s[2:3], 0, v5, s[2:3]
	v_cmp_le_u32_e64 s[2:3], s19, v5
	v_cmp_le_u32_e32 vcc, s19, v1
	s_nop 0
	v_cndmask_b32_e64 v11, 0, -1, s[2:3]
	v_cmp_le_u32_e64 s[2:3], s18, v10
	s_nop 1
	v_cndmask_b32_e64 v10, 0, -1, s[2:3]
	v_cmp_eq_u32_e64 s[2:3], s19, v5
	s_nop 1
	v_cndmask_b32_e64 v5, v11, v10, s[2:3]
	v_lshl_add_u64 v[10:11], v[8:9], 0, 2
	v_cmp_ne_u32_e64 s[2:3], 0, v5
	s_nop 1
	v_cndmask_b32_e64 v5, v13, v11, s[2:3]
	v_cndmask_b32_e64 v11, 0, -1, vcc
	v_cmp_le_u32_e32 vcc, s18, v14
	s_nop 1
	v_cndmask_b32_e64 v13, 0, -1, vcc
	v_cmp_eq_u32_e32 vcc, s19, v1
	s_nop 1
	v_cndmask_b32_e32 v1, v11, v13, vcc
	v_cmp_ne_u32_e32 vcc, 0, v1
	v_cndmask_b32_e64 v1, v12, v10, s[2:3]
	s_nop 0
	v_cndmask_b32_e32 v9, v9, v5, vcc
	v_cndmask_b32_e32 v8, v8, v1, vcc
.LBB0_4:                                ;   in Loop: Header=BB0_2 Depth=1
	s_andn2_saveexec_b64 s[2:3], s[20:21]
	s_cbranch_execz .LBB0_6
; %bb.5:                                ;   in Loop: Header=BB0_2 Depth=1
	v_cvt_f32_u32_e32 v1, s18
	s_sub_i32 s20, 0, s18
	v_rcp_iflag_f32_e32 v1, v1
	s_nop 0
	v_mul_f32_e32 v1, 0x4f7ffffe, v1
	v_cvt_u32_f32_e32 v1, v1
	v_mul_lo_u32 v5, s20, v1
	v_mul_hi_u32 v5, v1, v5
	v_add_u32_e32 v1, v1, v5
	v_mul_hi_u32 v1, v6, v1
	v_mul_lo_u32 v5, v1, s18
	v_sub_u32_e32 v5, v6, v5
	v_add_u32_e32 v8, 1, v1
	v_subrev_u32_e32 v9, s18, v5
	v_cmp_le_u32_e32 vcc, s18, v5
	s_nop 1
	v_cndmask_b32_e32 v5, v5, v9, vcc
	v_cndmask_b32_e32 v1, v1, v8, vcc
	v_add_u32_e32 v8, 1, v1
	v_cmp_le_u32_e32 vcc, s18, v5
	v_mov_b32_e32 v9, v4
	s_nop 0
	v_cndmask_b32_e32 v8, v1, v8, vcc
.LBB0_6:                                ;   in Loop: Header=BB0_2 Depth=1
	s_or_b64 exec, exec, s[2:3]
	v_mad_u64_u32 v[10:11], s[2:3], v8, s18, 0
	s_load_dwordx2 s[2:3], s[12:13], 0x0
	v_mul_lo_u32 v1, v9, s18
	v_mul_lo_u32 v5, v8, s19
	v_add3_u32 v1, v11, v5, v1
	v_sub_co_u32_e32 v5, vcc, v6, v10
	s_add_u32 s14, s14, 1
	s_nop 0
	v_subb_co_u32_e32 v1, vcc, v7, v1, vcc
	s_addc_u32 s15, s15, 0
	s_waitcnt lgkmcnt(0)
	v_mul_lo_u32 v1, s2, v1
	v_mul_lo_u32 v6, s3, v5
	v_mad_u64_u32 v[2:3], s[2:3], s2, v5, v[2:3]
	s_add_u32 s12, s12, 8
	v_add3_u32 v3, v6, v3, v1
	s_addc_u32 s13, s13, 0
	v_mov_b64_e32 v[6:7], s[6:7]
	s_add_u32 s16, s16, 8
	v_cmp_ge_u64_e32 vcc, s[14:15], v[6:7]
	s_addc_u32 s17, s17, 0
	s_cbranch_vccnz .LBB0_9
; %bb.7:                                ;   in Loop: Header=BB0_2 Depth=1
	v_mov_b64_e32 v[6:7], v[8:9]
	s_branch .LBB0_2
.LBB0_8:
	v_mov_b64_e32 v[8:9], v[6:7]
.LBB0_9:
	s_lshl_b64 s[2:3], s[6:7], 3
	s_add_u32 s2, s10, s2
	s_addc_u32 s3, s11, s3
	s_load_dwordx2 s[6:7], s[2:3], 0x0
	s_load_dwordx2 s[10:11], s[0:1], 0x20
                                        ; implicit-def: $vgpr24_vgpr25
                                        ; implicit-def: $vgpr20_vgpr21
                                        ; implicit-def: $vgpr16_vgpr17
                                        ; implicit-def: $vgpr32_vgpr33
                                        ; implicit-def: $vgpr28_vgpr29
                                        ; implicit-def: $vgpr12_vgpr13
                                        ; implicit-def: $vgpr36_vgpr37
                                        ; implicit-def: $vgpr44_vgpr45
                                        ; implicit-def: $vgpr40_vgpr41
                                        ; implicit-def: $vgpr48_vgpr49
	s_waitcnt lgkmcnt(0)
	v_mad_u64_u32 v[2:3], s[0:1], s6, v8, v[2:3]
	v_mul_lo_u32 v1, s6, v9
	v_mul_lo_u32 v4, s7, v8
	s_mov_b32 s0, 0x3291620
	v_add3_u32 v3, v4, v3, v1
	v_mul_hi_u32 v1, v0, s0
	v_mul_u32_u24_e32 v1, 0x51, v1
	v_cmp_gt_u64_e64 s[2:3], s[10:11], v[8:9]
	v_sub_u32_e32 v50, v0, v1
	v_lshl_add_u64 v[52:53], v[2:3], 4, s[8:9]
                                        ; implicit-def: $vgpr8_vgpr9
                                        ; implicit-def: $vgpr4_vgpr5
	s_and_saveexec_b64 s[0:1], s[2:3]
	s_cbranch_execz .LBB0_13
; %bb.10:
	v_mov_b32_e32 v51, 0
	v_lshl_add_u64 v[0:1], v[50:51], 4, v[52:53]
	v_add_co_u32_e32 v14, vcc, 0x1000, v0
                                        ; implicit-def: $vgpr18_vgpr19
                                        ; implicit-def: $vgpr22_vgpr23
	s_nop 1
	v_addc_co_u32_e32 v15, vcc, 0, v1, vcc
	v_add_co_u32_e32 v16, vcc, 0x2000, v0
	s_nop 1
	v_addc_co_u32_e32 v17, vcc, 0, v1, vcc
	global_load_dwordx4 v[2:5], v[0:1], off
	global_load_dwordx4 v[6:9], v[0:1], off offset:1296
	global_load_dwordx4 v[38:41], v[16:17], off offset:448
	;; [unrolled: 1-line block ×8, first 2 shown]
	v_cmp_gt_u32_e32 vcc, 27, v50
                                        ; implicit-def: $vgpr14_vgpr15
	s_and_saveexec_b64 s[6:7], vcc
	s_cbranch_execz .LBB0_12
; %bb.11:
	v_add_co_u32_e32 v22, vcc, 0x2000, v0
	s_nop 1
	v_addc_co_u32_e32 v23, vcc, 0, v1, vcc
	global_load_dwordx4 v[14:17], v[0:1], off offset:3888
	global_load_dwordx4 v[18:21], v[22:23], off offset:16
	v_add_co_u32_e32 v0, vcc, 0x3000, v0
	s_nop 1
	v_addc_co_u32_e32 v1, vcc, 0, v1, vcc
	global_load_dwordx4 v[22:25], v[0:1], off offset:240
.LBB0_12:
	s_or_b64 exec, exec, s[6:7]
.LBB0_13:
	s_or_b64 exec, exec, s[0:1]
	s_waitcnt vmcnt(4)
	v_add_f64 v[54:55], v[38:39], v[46:47]
	s_mov_b32 s6, 0xe8584caa
	v_add_f64 v[0:1], v[46:47], v[2:3]
	v_fmac_f64_e32 v[2:3], -0.5, v[54:55]
	v_add_f64 v[54:55], v[48:49], -v[40:41]
	s_mov_b32 s7, 0x3febb67a
	s_mov_b32 s9, 0xbfebb67a
	;; [unrolled: 1-line block ×3, first 2 shown]
	s_waitcnt vmcnt(2)
	v_add_f64 v[58:59], v[34:35], v[42:43]
	v_fma_f64 v[56:57], s[6:7], v[54:55], v[2:3]
	v_fmac_f64_e32 v[2:3], s[8:9], v[54:55]
	v_add_f64 v[54:55], v[42:43], v[6:7]
	v_fmac_f64_e32 v[6:7], -0.5, v[58:59]
	v_add_f64 v[58:59], v[44:45], -v[36:37]
	v_add_f64 v[0:1], v[38:39], v[0:1]
	v_fma_f64 v[60:61], s[6:7], v[58:59], v[6:7]
	v_fmac_f64_e32 v[6:7], s[8:9], v[58:59]
	v_mad_u32_u24 v58, v50, 24, 0
	v_add_f64 v[54:55], v[34:35], v[54:55]
	ds_write2_b64 v58, v[0:1], v[56:57] offset1:1
	s_waitcnt vmcnt(0)
	v_add_f64 v[56:57], v[30:31], v[26:27]
	ds_write2_b64 v58, v[54:55], v[60:61] offset0:243 offset1:244
	v_add_f64 v[54:55], v[22:23], v[18:19]
	v_add_f64 v[0:1], v[26:27], v[10:11]
	v_fmac_f64_e32 v[10:11], -0.5, v[56:57]
	v_add_f64 v[56:57], v[28:29], -v[32:33]
	v_fma_f64 v[54:55], -0.5, v[54:55], v[14:15]
	v_add_f64 v[60:61], v[20:21], -v[24:25]
	v_fma_f64 v[62:63], s[6:7], v[56:57], v[10:11]
	v_fmac_f64_e32 v[10:11], s[8:9], v[56:57]
	v_fma_f64 v[56:57], s[6:7], v[60:61], v[54:55]
	v_fmac_f64_e32 v[54:55], s[8:9], v[60:61]
	v_add_f64 v[0:1], v[30:31], v[0:1]
	ds_write2_b64 v58, v[2:3], v[6:7] offset0:2 offset1:245
	v_add_u32_e32 v7, 0xf30, v58
	v_cmp_gt_u32_e64 s[0:1], 27, v50
	ds_write2_b64 v7, v[0:1], v[62:63] offset1:1
	ds_write_b64 v58, v[10:11] offset:3904
	s_and_saveexec_b64 s[10:11], s[0:1]
	s_cbranch_execz .LBB0_15
; %bb.14:
	v_add_f64 v[0:1], v[18:19], v[14:15]
	v_add_f64 v[0:1], v[22:23], v[0:1]
	v_add_u32_e32 v2, 0x16c8, v58
	ds_write2_b64 v2, v[0:1], v[56:57] offset1:1
	ds_write_b64 v58, v[54:55] offset:5848
.LBB0_15:
	s_or_b64 exec, exec, s[10:11]
	v_add_f64 v[0:1], v[48:49], v[4:5]
	v_add_f64 v[10:11], v[40:41], v[0:1]
	;; [unrolled: 1-line block ×3, first 2 shown]
	v_fmac_f64_e32 v[4:5], -0.5, v[0:1]
	v_add_f64 v[0:1], v[44:45], v[8:9]
	v_add_f64 v[48:49], v[36:37], v[0:1]
	;; [unrolled: 1-line block ×4, first 2 shown]
	v_lshlrev_b32_e32 v0, 4, v50
	v_sub_u32_e32 v51, v58, v0
	v_add_f64 v[46:47], v[46:47], -v[38:39]
	v_add_f64 v[44:45], v[36:37], v[44:45]
	v_add_u32_e32 v76, 0x800, v51
	v_add_u32_e32 v6, 0xc00, v51
	v_add_f64 v[42:43], v[42:43], -v[34:35]
	v_add_f64 v[62:63], v[32:33], v[28:29]
	v_add_f64 v[64:65], v[26:27], -v[30:31]
	s_waitcnt lgkmcnt(0)
	s_barrier
	ds_read2_b64 v[0:3], v51 offset1:81
	ds_read2_b64 v[38:41], v51 offset0:162 offset1:243
	ds_read2_b64 v[30:33], v76 offset0:68 offset1:149
	v_add_u32_e32 v14, 0x1000, v51
	ds_read2_b64 v[34:37], v6 offset0:102 offset1:183
	ds_read2_b64 v[26:29], v14 offset0:136 offset1:217
	v_fma_f64 v[66:67], s[8:9], v[46:47], v[4:5]
	v_fmac_f64_e32 v[8:9], -0.5, v[44:45]
	s_waitcnt lgkmcnt(0)
	s_barrier
	ds_write2_b64 v58, v[10:11], v[66:67] offset1:1
	v_fma_f64 v[10:11], s[8:9], v[42:43], v[8:9]
	ds_write2_b64 v58, v[48:49], v[10:11] offset0:243 offset1:244
	v_add_f64 v[10:11], v[24:25], v[20:21]
	v_fmac_f64_e32 v[8:9], s[6:7], v[42:43]
	v_fma_f64 v[42:43], -0.5, v[10:11], v[16:17]
	v_add_f64 v[10:11], v[18:19], -v[22:23]
	v_fmac_f64_e32 v[4:5], s[6:7], v[46:47]
	v_fmac_f64_e32 v[12:13], -0.5, v[62:63]
	v_fma_f64 v[18:19], s[8:9], v[10:11], v[42:43]
	v_fmac_f64_e32 v[42:43], s[6:7], v[10:11]
	v_fma_f64 v[44:45], s[8:9], v[64:65], v[12:13]
	v_fmac_f64_e32 v[12:13], s[6:7], v[64:65]
	ds_write2_b64 v58, v[4:5], v[8:9] offset0:2 offset1:245
	ds_write2_b64 v7, v[60:61], v[44:45] offset1:1
	ds_write_b64 v58, v[12:13] offset:3904
	s_and_saveexec_b64 s[6:7], s[0:1]
	s_cbranch_execz .LBB0_17
; %bb.16:
	v_add_f64 v[4:5], v[20:21], v[16:17]
	v_add_f64 v[4:5], v[24:25], v[4:5]
	v_add_u32_e32 v7, 0x16c8, v58
	ds_write2_b64 v7, v[4:5], v[18:19] offset1:1
	ds_write_b64 v58, v[42:43] offset:5848
.LBB0_17:
	s_or_b64 exec, exec, s[6:7]
	s_movk_i32 s6, 0xab
	v_mul_lo_u16_sdwa v4, v50, s6 dst_sel:DWORD dst_unused:UNUSED_PAD src0_sel:BYTE_0 src1_sel:DWORD
	v_lshrrev_b16_e32 v15, 9, v4
	v_mul_lo_u16_e32 v4, 3, v15
	v_sub_u16_e32 v77, v50, v4
	v_mov_b32_e32 v4, 9
	v_mul_u32_u24_sdwa v4, v77, v4 dst_sel:DWORD dst_unused:UNUSED_PAD src0_sel:BYTE_0 src1_sel:DWORD
	v_lshlrev_b32_e32 v4, 4, v4
	s_waitcnt lgkmcnt(0)
	s_barrier
	global_load_dwordx4 v[8:11], v4, s[4:5] offset:16
	global_load_dwordx4 v[64:67], v4, s[4:5] offset:32
	;; [unrolled: 1-line block ×6, first 2 shown]
	global_load_dwordx4 v[86:89], v4, s[4:5]
	global_load_dwordx4 v[90:93], v4, s[4:5] offset:112
	global_load_dwordx4 v[94:97], v4, s[4:5] offset:128
	ds_read2_b64 v[98:101], v51 offset0:162 offset1:243
	ds_read2_b64 v[102:105], v76 offset0:68 offset1:149
	ds_read2_b64 v[106:109], v6 offset0:102 offset1:183
	ds_read2_b64 v[4:7], v51 offset1:81
	ds_read2_b64 v[110:113], v14 offset0:136 offset1:217
	s_mov_b32 s14, 0x134454ff
	s_mov_b32 s15, 0x3fee6f0e
	;; [unrolled: 1-line block ×10, first 2 shown]
	v_mul_u32_u24_e32 v15, 0xf0, v15
	s_mov_b32 s16, 0x9b97f4a8
	s_mov_b32 s17, 0x3fe9e377
	s_waitcnt lgkmcnt(0)
	s_barrier
	s_waitcnt vmcnt(8)
	v_mul_f64 v[16:17], v[98:99], v[10:11]
	v_mul_f64 v[20:21], v[38:39], v[10:11]
	s_waitcnt vmcnt(7)
	v_mul_f64 v[24:25], v[100:101], v[66:67]
	v_mul_f64 v[10:11], v[40:41], v[66:67]
	;; [unrolled: 3-line block ×9, first 2 shown]
	v_fma_f64 v[62:63], v[38:39], v[8:9], -v[16:17]
	v_fmac_f64_e32 v[20:21], v[98:99], v[8:9]
	v_fma_f64 v[8:9], v[40:41], v[64:65], -v[24:25]
	v_fma_f64 v[40:41], v[30:31], v[68:69], -v[66:67]
	;; [unrolled: 1-line block ×8, first 2 shown]
	v_fmac_f64_e32 v[10:11], v[100:101], v[64:65]
	v_fmac_f64_e32 v[12:13], v[104:105], v[72:73]
	;; [unrolled: 1-line block ×4, first 2 shown]
	v_add_f64 v[26:27], v[40:41], v[32:33]
	v_add_f64 v[28:29], v[62:63], v[34:35]
	;; [unrolled: 1-line block ×4, first 2 shown]
	v_fmac_f64_e32 v[46:47], v[6:7], v[86:87]
	v_add_f64 v[6:7], v[0:1], v[62:63]
	v_add_f64 v[70:71], v[30:31], v[8:9]
	v_fma_f64 v[26:27], -0.5, v[26:27], v[0:1]
	v_fmac_f64_e32 v[0:1], -0.5, v[28:29]
	v_fma_f64 v[28:29], -0.5, v[64:65], v[30:31]
	v_fmac_f64_e32 v[30:31], -0.5, v[66:67]
	v_add_f64 v[86:87], v[12:13], -v[22:23]
	v_add_f64 v[66:67], v[10:11], v[58:59]
	v_fmac_f64_e32 v[44:45], v[102:103], v[68:69]
	v_fmac_f64_e32 v[48:49], v[106:107], v[78:79]
	;; [unrolled: 1-line block ×3, first 2 shown]
	v_add_f64 v[36:37], v[40:41], -v[62:63]
	v_add_f64 v[38:39], v[32:33], -v[34:35]
	;; [unrolled: 1-line block ×4, first 2 shown]
	v_fma_f64 v[64:65], s[10:11], v[86:87], v[30:31]
	v_fmac_f64_e32 v[30:31], s[14:15], v[86:87]
	v_add_f64 v[88:89], v[10:11], -v[58:59]
	v_fma_f64 v[66:67], -0.5, v[66:67], v[46:47]
	v_add_f64 v[90:91], v[16:17], -v[24:25]
	v_add_f64 v[74:75], v[12:13], -v[10:11]
	;; [unrolled: 1-line block ×4, first 2 shown]
	v_add_f64 v[36:37], v[36:37], v[38:39]
	v_add_f64 v[38:39], v[68:69], v[72:73]
	v_fmac_f64_e32 v[30:31], s[12:13], v[88:89]
	v_fma_f64 v[68:69], s[14:15], v[90:91], v[66:67]
	v_fmac_f64_e32 v[66:67], s[10:11], v[90:91]
	v_add_f64 v[92:93], v[8:9], -v[2:3]
	v_add_f64 v[78:79], v[74:75], v[78:79]
	v_fma_f64 v[82:83], s[10:11], v[80:81], v[0:1]
	v_fmac_f64_e32 v[0:1], s[14:15], v[80:81]
	v_add_f64 v[84:85], v[20:21], -v[60:61]
	v_fmac_f64_e32 v[30:31], s[6:7], v[38:39]
	v_fmac_f64_e32 v[66:67], s[8:9], v[92:93]
	v_add_f64 v[70:71], v[70:71], v[16:17]
	v_fmac_f64_e32 v[0:1], s[12:13], v[84:85]
	v_fmac_f64_e32 v[66:67], s[6:7], v[78:79]
	v_mul_f64 v[72:73], v[30:31], s[6:7]
	v_add_f64 v[8:9], v[8:9], -v[16:17]
	v_add_f64 v[16:17], v[70:71], v[24:25]
	v_fmac_f64_e32 v[0:1], s[6:7], v[36:37]
	v_fma_f64 v[72:73], v[66:67], s[14:15], -v[72:73]
	v_add_f64 v[16:17], v[16:17], v[2:3]
	v_add_f64 v[2:3], v[2:3], -v[24:25]
	v_add_f64 v[70:71], v[12:13], v[22:23]
	v_add_f64 v[94:95], v[0:1], v[72:73]
	v_add_f64 v[0:1], v[0:1], -v[72:73]
	v_add_f64 v[72:73], v[62:63], -v[40:41]
	;; [unrolled: 1-line block ×3, first 2 shown]
	v_add_f64 v[2:3], v[8:9], v[2:3]
	v_add_f64 v[8:9], v[10:11], -v[12:13]
	v_add_f64 v[24:25], v[58:59], -v[22:23]
	v_fma_f64 v[70:71], -0.5, v[70:71], v[46:47]
	v_add_f64 v[96:97], v[72:73], v[74:75]
	v_add_f64 v[8:9], v[8:9], v[24:25]
	v_mov_b32_e32 v24, 3
	v_fma_f64 v[74:75], s[10:11], v[92:93], v[70:71]
	v_lshlrev_b32_sdwa v24, v24, v77 dst_sel:DWORD dst_unused:UNUSED_PAD src0_sel:DWORD src1_sel:BYTE_0
	v_fma_f64 v[72:73], s[14:15], v[88:89], v[28:29]
	v_fmac_f64_e32 v[74:75], s[12:13], v[90:91]
	v_add3_u32 v77, 0, v15, v24
	v_add_f64 v[6:7], v[6:7], v[40:41]
	v_fma_f64 v[24:25], s[14:15], v[84:85], v[26:27]
	v_fmac_f64_e32 v[72:73], s[8:9], v[86:87]
	v_fmac_f64_e32 v[74:75], s[6:7], v[8:9]
	v_fmac_f64_e32 v[28:29], s[10:11], v[88:89]
	v_add_f64 v[6:7], v[6:7], v[32:33]
	v_fmac_f64_e32 v[24:25], s[8:9], v[80:81]
	v_fmac_f64_e32 v[72:73], s[6:7], v[2:3]
	v_mul_f64 v[98:99], v[74:75], s[8:9]
	v_fmac_f64_e32 v[28:29], s[12:13], v[86:87]
	v_fmac_f64_e32 v[70:71], s[14:15], v[92:93]
	;; [unrolled: 1-line block ×3, first 2 shown]
	v_add_f64 v[6:7], v[6:7], v[34:35]
	v_fmac_f64_e32 v[24:25], s[6:7], v[96:97]
	v_fmac_f64_e32 v[98:99], s[16:17], v[72:73]
	;; [unrolled: 1-line block ×7, first 2 shown]
	v_add_f64 v[100:101], v[6:7], v[16:17]
	v_add_f64 v[102:103], v[24:25], v[98:99]
	v_fmac_f64_e32 v[26:27], s[12:13], v[80:81]
	v_fmac_f64_e32 v[82:83], s[8:9], v[84:85]
	;; [unrolled: 1-line block ×4, first 2 shown]
	v_add_f64 v[2:3], v[6:7], -v[16:17]
	v_mul_f64 v[6:7], v[68:69], s[14:15]
	v_add_f64 v[8:9], v[24:25], -v[98:99]
	v_mul_f64 v[24:25], v[28:29], s[16:17]
	v_fmac_f64_e32 v[26:27], s[6:7], v[96:97]
	v_fmac_f64_e32 v[82:83], s[6:7], v[36:37]
	;; [unrolled: 1-line block ×3, first 2 shown]
	v_fma_f64 v[24:25], v[70:71], s[8:9], -v[24:25]
	v_add_f64 v[16:17], v[82:83], v[6:7]
	v_add_f64 v[6:7], v[82:83], -v[6:7]
	v_add_f64 v[38:39], v[26:27], v[24:25]
	v_add_u32_e32 v78, 0x400, v51
	ds_write2_b64 v77, v[100:101], v[102:103] offset1:3
	v_add_f64 v[36:37], v[26:27], -v[24:25]
	ds_write2_b64 v77, v[16:17], v[94:95] offset0:6 offset1:9
	ds_write2_b64 v77, v[38:39], v[2:3] offset0:12 offset1:15
	;; [unrolled: 1-line block ×4, first 2 shown]
	s_waitcnt lgkmcnt(0)
	s_barrier
	ds_read2_b64 v[6:9], v51 offset1:81
	ds_read2_b64 v[0:3], v78 offset0:34 offset1:142
	ds_read2_b64 v[14:17], v14 offset0:28 offset1:109
	ds_read_b64 v[38:39], v51 offset:5616
	ds_read2_b64 v[24:27], v76 offset0:95 offset1:176
	s_and_saveexec_b64 s[18:19], s[0:1]
	s_cbranch_execz .LBB0_19
; %bb.18:
	ds_read_b64 v[36:37], v51 offset:1944
	ds_read_b64 v[56:57], v51 offset:4104
	;; [unrolled: 1-line block ×3, first 2 shown]
.LBB0_19:
	s_or_b64 exec, exec, s[18:19]
	v_add_f64 v[82:83], v[44:45], v[48:49]
	v_fma_f64 v[82:83], -0.5, v[82:83], v[4:5]
	v_add_f64 v[34:35], v[62:63], -v[34:35]
	v_fma_f64 v[62:63], s[10:11], v[34:35], v[82:83]
	v_add_f64 v[32:33], v[40:41], -v[32:33]
	v_add_f64 v[40:41], v[20:21], -v[44:45]
	;; [unrolled: 1-line block ×3, first 2 shown]
	v_fmac_f64_e32 v[82:83], s[14:15], v[34:35]
	v_fmac_f64_e32 v[62:63], s[12:13], v[32:33]
	v_add_f64 v[40:41], v[40:41], v[84:85]
	v_fmac_f64_e32 v[82:83], s[8:9], v[32:33]
	v_fmac_f64_e32 v[62:63], s[6:7], v[40:41]
	;; [unrolled: 1-line block ×3, first 2 shown]
	v_add_f64 v[40:41], v[20:21], v[60:61]
	v_add_f64 v[80:81], v[4:5], v[20:21]
	v_fmac_f64_e32 v[4:5], -0.5, v[40:41]
	v_add_f64 v[80:81], v[80:81], v[44:45]
	v_fma_f64 v[40:41], s[14:15], v[32:33], v[4:5]
	v_add_f64 v[20:21], v[44:45], -v[20:21]
	v_add_f64 v[44:45], v[48:49], -v[60:61]
	v_fmac_f64_e32 v[4:5], s[10:11], v[32:33]
	v_add_f64 v[10:11], v[46:47], v[10:11]
	v_fmac_f64_e32 v[40:41], s[12:13], v[34:35]
	v_add_f64 v[20:21], v[20:21], v[44:45]
	;; [unrolled: 2-line block ×3, first 2 shown]
	v_add_f64 v[80:81], v[80:81], v[48:49]
	v_fmac_f64_e32 v[40:41], s[6:7], v[20:21]
	v_fmac_f64_e32 v[4:5], s[6:7], v[20:21]
	v_add_f64 v[10:11], v[10:11], v[22:23]
	v_mul_f64 v[20:21], v[72:73], s[12:13]
	v_mul_f64 v[44:45], v[66:67], s[6:7]
	v_add_f64 v[80:81], v[80:81], v[60:61]
	v_add_f64 v[10:11], v[10:11], v[58:59]
	v_fmac_f64_e32 v[20:21], s[16:17], v[74:75]
	v_mul_f64 v[32:33], v[64:65], s[10:11]
	v_fma_f64 v[30:31], v[30:31], s[10:11], -v[44:45]
	v_mul_f64 v[44:45], v[70:71], s[16:17]
	v_add_f64 v[12:13], v[80:81], v[10:11]
	v_add_f64 v[22:23], v[62:63], v[20:21]
	v_fmac_f64_e32 v[32:33], s[6:7], v[68:69]
	v_add_f64 v[46:47], v[4:5], v[30:31]
	v_fma_f64 v[28:29], v[28:29], s[12:13], -v[44:45]
	v_add_f64 v[4:5], v[4:5], -v[30:31]
	v_add_f64 v[34:35], v[40:41], v[32:33]
	v_add_f64 v[48:49], v[82:83], v[28:29]
	v_add_f64 v[10:11], v[80:81], -v[10:11]
	v_add_f64 v[20:21], v[62:63], -v[20:21]
	;; [unrolled: 1-line block ×4, first 2 shown]
	s_waitcnt lgkmcnt(0)
	s_barrier
	ds_write2_b64 v77, v[12:13], v[22:23] offset1:3
	ds_write2_b64 v77, v[34:35], v[46:47] offset0:6 offset1:9
	ds_write2_b64 v77, v[48:49], v[10:11] offset0:12 offset1:15
	;; [unrolled: 1-line block ×4, first 2 shown]
	v_add_u32_e32 v4, 0x1000, v51
	s_waitcnt lgkmcnt(0)
	s_barrier
	ds_read2_b64 v[20:23], v51 offset1:81
	ds_read2_b64 v[10:13], v78 offset0:34 offset1:142
	ds_read2_b64 v[32:35], v4 offset0:28 offset1:109
	v_add_u32_e32 v4, 0x800, v51
	ds_read2_b64 v[28:31], v4 offset0:95 offset1:176
	ds_read_b64 v[4:5], v51 offset:5616
	s_and_saveexec_b64 s[6:7], s[0:1]
	s_cbranch_execz .LBB0_21
; %bb.20:
	ds_read_b64 v[44:45], v51 offset:1944
	ds_read_b64 v[18:19], v51 offset:4104
	;; [unrolled: 1-line block ×3, first 2 shown]
.LBB0_21:
	s_or_b64 exec, exec, s[6:7]
	s_movk_i32 s6, 0x89
	v_mul_lo_u16_sdwa v40, v50, s6 dst_sel:DWORD dst_unused:UNUSED_PAD src0_sel:BYTE_0 src1_sel:DWORD
	v_lshrrev_b16_e32 v79, 12, v40
	v_mul_lo_u16_e32 v40, 30, v79
	v_sub_u16_e32 v108, v50, v40
	v_mov_b32_e32 v40, 5
	v_add_u32_e32 v78, 0x51, v50
	v_lshlrev_b32_sdwa v41, v40, v108 dst_sel:DWORD dst_unused:UNUSED_PAD src0_sel:DWORD src1_sel:BYTE_0
	global_load_dwordx4 v[66:69], v41, s[4:5] offset:448
	global_load_dwordx4 v[70:73], v41, s[4:5] offset:432
	v_mul_lo_u16_sdwa v41, v78, s6 dst_sel:DWORD dst_unused:UNUSED_PAD src0_sel:BYTE_0 src1_sel:DWORD
	v_lshrrev_b16_e32 v109, 12, v41
	v_mul_lo_u16_e32 v41, 30, v109
	v_sub_u16_e32 v110, v78, v41
	v_add_u32_e32 v77, 0xa2, v50
	v_lshlrev_b32_sdwa v41, v40, v110 dst_sel:DWORD dst_unused:UNUSED_PAD src0_sel:DWORD src1_sel:BYTE_0
	global_load_dwordx4 v[80:83], v41, s[4:5] offset:448
	global_load_dwordx4 v[84:87], v41, s[4:5] offset:432
	v_mul_lo_u16_sdwa v41, v77, s6 dst_sel:DWORD dst_unused:UNUSED_PAD src0_sel:BYTE_0 src1_sel:DWORD
	v_lshrrev_b16_e32 v111, 12, v41
	v_mul_lo_u16_e32 v41, 30, v111
	v_sub_u16_e32 v112, v77, v41
	v_add_u32_e32 v76, 0xf3, v50
	v_lshlrev_b32_sdwa v40, v40, v112 dst_sel:DWORD dst_unused:UNUSED_PAD src0_sel:DWORD src1_sel:BYTE_0
	s_mov_b32 s6, 0x8889
	global_load_dwordx4 v[88:91], v40, s[4:5] offset:448
	global_load_dwordx4 v[92:95], v40, s[4:5] offset:432
	v_mul_u32_u24_sdwa v40, v76, s6 dst_sel:DWORD dst_unused:UNUSED_PAD src0_sel:WORD_0 src1_sel:DWORD
	v_lshrrev_b32_e32 v40, 20, v40
	v_mul_lo_u16_e32 v40, 30, v40
	v_sub_u16_e32 v113, v76, v40
	v_lshlrev_b32_e32 v40, 5, v113
	global_load_dwordx4 v[96:99], v40, s[4:5] offset:432
	global_load_dwordx4 v[100:103], v40, s[4:5] offset:448
	s_mov_b32 s6, 0xe8584caa
	s_mov_b32 s7, 0x3febb67a
	;; [unrolled: 1-line block ×4, first 2 shown]
	s_waitcnt lgkmcnt(0)
	s_barrier
	s_waitcnt vmcnt(7)
	v_mul_f64 v[104:105], v[32:33], v[68:69]
	s_waitcnt vmcnt(6)
	v_mul_f64 v[74:75], v[12:13], v[72:73]
	v_mul_f64 v[64:65], v[2:3], v[72:73]
	;; [unrolled: 1-line block ×3, first 2 shown]
	v_fma_f64 v[72:73], v[2:3], v[70:71], -v[74:75]
	v_fmac_f64_e32 v[64:65], v[12:13], v[70:71]
	v_fma_f64 v[74:75], v[14:15], v[66:67], -v[104:105]
	s_waitcnt vmcnt(5)
	v_mul_f64 v[62:63], v[16:17], v[82:83]
	s_waitcnt vmcnt(4)
	v_mul_f64 v[106:107], v[28:29], v[86:87]
	v_mul_f64 v[60:61], v[24:25], v[86:87]
	;; [unrolled: 1-line block ×3, first 2 shown]
	v_fmac_f64_e32 v[68:69], v[32:33], v[66:67]
	v_fma_f64 v[66:67], v[24:25], v[84:85], -v[106:107]
	v_fma_f64 v[70:71], v[16:17], v[80:81], -v[86:87]
	v_fmac_f64_e32 v[62:63], v[34:35], v[80:81]
	s_waitcnt vmcnt(3)
	v_mul_f64 v[58:59], v[38:39], v[90:91]
	s_waitcnt vmcnt(2)
	v_mul_f64 v[82:83], v[30:31], v[94:95]
	v_mul_f64 v[40:41], v[26:27], v[94:95]
	;; [unrolled: 1-line block ×3, first 2 shown]
	v_fma_f64 v[32:33], v[26:27], v[92:93], -v[82:83]
	v_fma_f64 v[34:35], v[38:39], v[88:89], -v[94:95]
	s_waitcnt vmcnt(1)
	v_mul_f64 v[90:91], v[18:19], v[98:99]
	v_mul_f64 v[46:47], v[56:57], v[98:99]
	s_waitcnt vmcnt(0)
	v_mul_f64 v[98:99], v[42:43], v[102:103]
	v_fmac_f64_e32 v[60:61], v[28:29], v[84:85]
	v_fmac_f64_e32 v[40:41], v[30:31], v[92:93]
	v_fmac_f64_e32 v[58:59], v[4:5], v[88:89]
	v_fma_f64 v[12:13], v[56:57], v[96:97], -v[90:91]
	v_add_f64 v[4:5], v[72:73], v[74:75]
	v_add_f64 v[24:25], v[66:67], v[70:71]
	;; [unrolled: 1-line block ×3, first 2 shown]
	v_mul_f64 v[48:49], v[54:55], v[102:103]
	v_fmac_f64_e32 v[46:47], v[18:19], v[96:97]
	v_fma_f64 v[14:15], v[54:55], v[100:101], -v[98:99]
	v_add_f64 v[2:3], v[6:7], v[72:73]
	v_add_f64 v[16:17], v[64:65], -v[68:69]
	v_add_f64 v[18:19], v[8:9], v[66:67]
	v_add_f64 v[26:27], v[60:61], -v[62:63]
	;; [unrolled: 2-line block ×3, first 2 shown]
	v_fma_f64 v[4:5], -0.5, v[4:5], v[6:7]
	v_fmac_f64_e32 v[8:9], -0.5, v[24:25]
	v_fmac_f64_e32 v[0:1], -0.5, v[30:31]
	v_add_f64 v[6:7], v[36:37], v[12:13]
	v_fmac_f64_e32 v[48:49], v[42:43], v[100:101]
	v_add_f64 v[24:25], v[28:29], v[34:35]
	v_fma_f64 v[28:29], s[6:7], v[16:17], v[4:5]
	v_fmac_f64_e32 v[4:5], s[8:9], v[16:17]
	v_fma_f64 v[16:17], s[6:7], v[26:27], v[8:9]
	v_fmac_f64_e32 v[8:9], s[8:9], v[26:27]
	;; [unrolled: 2-line block ×3, first 2 shown]
	v_add_f64 v[38:39], v[6:7], v[14:15]
	v_add_f64 v[6:7], v[12:13], v[14:15]
	v_fmac_f64_e32 v[36:37], -0.5, v[6:7]
	v_add_f64 v[30:31], v[46:47], -v[48:49]
	v_fma_f64 v[6:7], s[6:7], v[30:31], v[36:37]
	v_fmac_f64_e32 v[36:37], s[8:9], v[30:31]
	v_mov_b32_e32 v31, 3
	v_mul_u32_u24_e32 v30, 0x2d0, v79
	v_lshlrev_b32_sdwa v42, v31, v108 dst_sel:DWORD dst_unused:UNUSED_PAD src0_sel:DWORD src1_sel:BYTE_0
	v_add_f64 v[2:3], v[2:3], v[74:75]
	v_add3_u32 v54, 0, v30, v42
	ds_write2_b64 v54, v[2:3], v[28:29] offset1:30
	ds_write_b64 v54, v[4:5] offset:480
	v_mul_u32_u24_e32 v2, 0x2d0, v109
	v_lshlrev_b32_sdwa v3, v31, v110 dst_sel:DWORD dst_unused:UNUSED_PAD src0_sel:DWORD src1_sel:BYTE_0
	v_add_f64 v[18:19], v[18:19], v[70:71]
	v_add3_u32 v55, 0, v2, v3
	v_mul_u32_u24_e32 v2, 0x2d0, v111
	v_lshlrev_b32_sdwa v3, v31, v112 dst_sel:DWORD dst_unused:UNUSED_PAD src0_sel:DWORD src1_sel:BYTE_0
	ds_write2_b64 v55, v[18:19], v[16:17] offset1:30
	ds_write_b64 v55, v[8:9] offset:480
	v_add3_u32 v9, 0, v2, v3
	v_lshl_add_u32 v8, v113, 3, 0
	ds_write2_b64 v9, v[24:25], v[26:27] offset1:30
	ds_write_b64 v9, v[0:1] offset:480
	s_and_saveexec_b64 s[6:7], s[0:1]
	s_cbranch_execz .LBB0_23
; %bb.22:
	v_add_u32_e32 v0, 0x1000, v8
	ds_write2_b64 v0, v[38:39], v[6:7] offset0:208 offset1:238
	ds_write_b64 v8, v[36:37] offset:6240
.LBB0_23:
	s_or_b64 exec, exec, s[6:7]
	v_add_u32_e32 v0, 0x400, v51
	s_waitcnt lgkmcnt(0)
	s_barrier
	ds_read2_b64 v[2:5], v0 offset0:34 offset1:142
	v_add_u32_e32 v0, 0x1000, v51
	ds_read2_b64 v[28:31], v0 offset0:28 offset1:109
	v_add_u32_e32 v0, 0x800, v51
	ds_read2_b64 v[16:19], v51 offset1:81
	ds_read2_b64 v[24:27], v0 offset0:95 offset1:176
	ds_read_b64 v[0:1], v51 offset:5616
	s_and_saveexec_b64 s[6:7], s[0:1]
	s_cbranch_execz .LBB0_25
; %bb.24:
	ds_read_b64 v[38:39], v51 offset:1944
	ds_read_b64 v[6:7], v51 offset:4104
	;; [unrolled: 1-line block ×3, first 2 shown]
.LBB0_25:
	s_or_b64 exec, exec, s[6:7]
	v_add_f64 v[42:43], v[20:21], v[64:65]
	v_add_f64 v[56:57], v[42:43], v[68:69]
	;; [unrolled: 1-line block ×3, first 2 shown]
	s_mov_b32 s6, 0xe8584caa
	v_fma_f64 v[20:21], -0.5, v[42:43], v[20:21]
	v_add_f64 v[42:43], v[72:73], -v[74:75]
	s_mov_b32 s7, 0xbfebb67a
	s_mov_b32 s9, 0x3febb67a
	;; [unrolled: 1-line block ×3, first 2 shown]
	v_fma_f64 v[64:65], s[6:7], v[42:43], v[20:21]
	v_fmac_f64_e32 v[20:21], s[8:9], v[42:43]
	v_add_f64 v[42:43], v[22:23], v[60:61]
	v_add_f64 v[68:69], v[42:43], v[62:63]
	;; [unrolled: 1-line block ×3, first 2 shown]
	v_fmac_f64_e32 v[22:23], -0.5, v[42:43]
	v_add_f64 v[42:43], v[66:67], -v[70:71]
	v_fma_f64 v[60:61], s[6:7], v[42:43], v[22:23]
	v_fmac_f64_e32 v[22:23], s[8:9], v[42:43]
	v_add_f64 v[42:43], v[10:11], v[40:41]
	v_add_f64 v[40:41], v[40:41], v[58:59]
	v_fmac_f64_e32 v[10:11], -0.5, v[40:41]
	v_add_f64 v[32:33], v[32:33], -v[34:35]
	v_fma_f64 v[34:35], s[6:7], v[32:33], v[10:11]
	v_fmac_f64_e32 v[10:11], s[8:9], v[32:33]
	v_add_f64 v[32:33], v[44:45], v[46:47]
	v_add_f64 v[40:41], v[32:33], v[48:49]
	;; [unrolled: 1-line block ×3, first 2 shown]
	v_fmac_f64_e32 v[44:45], -0.5, v[32:33]
	v_add_f64 v[12:13], v[12:13], -v[14:15]
	v_add_f64 v[62:63], v[42:43], v[58:59]
	v_fma_f64 v[42:43], s[6:7], v[12:13], v[44:45]
	v_fmac_f64_e32 v[44:45], s[8:9], v[12:13]
	s_waitcnt lgkmcnt(0)
	s_barrier
	ds_write2_b64 v54, v[56:57], v[64:65] offset1:30
	ds_write_b64 v54, v[20:21] offset:480
	ds_write2_b64 v55, v[68:69], v[60:61] offset1:30
	ds_write_b64 v55, v[22:23] offset:480
	;; [unrolled: 2-line block ×3, first 2 shown]
	s_and_saveexec_b64 s[6:7], s[0:1]
	s_cbranch_execz .LBB0_27
; %bb.26:
	v_add_u32_e32 v9, 0x1000, v8
	ds_write2_b64 v9, v[40:41], v[42:43] offset0:208 offset1:238
	ds_write_b64 v8, v[44:45] offset:6240
.LBB0_27:
	s_or_b64 exec, exec, s[6:7]
	v_add_u32_e32 v20, 0x1000, v51
	s_waitcnt lgkmcnt(0)
	s_barrier
	v_add_u32_e32 v12, 0x400, v51
	ds_read2_b64 v[32:35], v20 offset0:28 offset1:109
	v_add_u32_e32 v20, 0x800, v51
	ds_read2_b64 v[8:11], v51 offset1:81
	ds_read2_b64 v[12:15], v12 offset0:34 offset1:142
	ds_read2_b64 v[20:23], v20 offset0:95 offset1:176
	ds_read_b64 v[48:49], v51 offset:5616
	s_and_saveexec_b64 s[6:7], s[0:1]
	s_cbranch_execz .LBB0_29
; %bb.28:
	ds_read_b64 v[40:41], v51 offset:1944
	ds_read_b64 v[42:43], v51 offset:4104
	;; [unrolled: 1-line block ×3, first 2 shown]
.LBB0_29:
	s_or_b64 exec, exec, s[6:7]
	v_lshlrev_b32_e32 v62, 1, v50
	v_mov_b32_e32 v63, 0
	v_lshl_add_u64 v[46:47], v[62:63], 4, s[4:5]
	v_add_u32_e32 v62, -9, v50
	v_cmp_gt_u32_e32 vcc, 9, v50
	s_movk_i32 s6, 0xb7
	global_load_dwordx4 v[54:57], v[46:47], off offset:1392
	global_load_dwordx4 v[58:61], v[46:47], off offset:1408
	v_cndmask_b32_e32 v79, v62, v78, vcc
	v_lshlrev_b32_e32 v62, 1, v79
	v_lshl_add_u64 v[62:63], v[62:63], 4, s[4:5]
	global_load_dwordx4 v[70:73], v[62:63], off offset:1392
	global_load_dwordx4 v[80:83], v[62:63], off offset:1408
	s_movk_i32 s7, 0x2d83
	v_mul_lo_u16_sdwa v63, v77, s6 dst_sel:DWORD dst_unused:UNUSED_PAD src0_sel:BYTE_0 src1_sel:DWORD
	v_mul_u32_u24_sdwa v64, v76, s7 dst_sel:DWORD dst_unused:UNUSED_PAD src0_sel:WORD_0 src1_sel:DWORD
	v_lshrrev_b16_e32 v100, 14, v63
	v_lshrrev_b32_e32 v63, 20, v64
	v_mul_lo_u16_e32 v64, 0x5a, v100
	v_mov_b32_e32 v62, 5
	v_sub_u16_e32 v101, v77, v64
	v_lshlrev_b32_sdwa v62, v62, v101 dst_sel:DWORD dst_unused:UNUSED_PAD src0_sel:DWORD src1_sel:BYTE_0
	global_load_dwordx4 v[84:87], v62, s[4:5] offset:1408
	global_load_dwordx4 v[88:91], v62, s[4:5] offset:1392
	v_mul_lo_u16_e32 v62, 0x5a, v63
	v_sub_u16_e32 v102, v76, v62
	v_lshlrev_b32_e32 v62, 5, v102
	global_load_dwordx4 v[92:95], v62, s[4:5] offset:1392
	global_load_dwordx4 v[96:99], v62, s[4:5] offset:1408
	s_mov_b32 s6, 0xe8584caa
	s_mov_b32 s7, 0x3febb67a
	;; [unrolled: 1-line block ×4, first 2 shown]
	s_waitcnt lgkmcnt(0)
	s_barrier
	v_cmp_lt_u32_e32 vcc, 8, v50
	s_waitcnt vmcnt(7)
	v_mul_f64 v[64:65], v[14:15], v[56:57]
	v_mul_f64 v[62:63], v[4:5], v[56:57]
	s_waitcnt vmcnt(6)
	v_mul_f64 v[56:57], v[32:33], v[60:61]
	v_mul_f64 v[66:67], v[28:29], v[60:61]
	v_fma_f64 v[64:65], v[4:5], v[54:55], -v[64:65]
	v_fma_f64 v[68:69], v[28:29], v[58:59], -v[56:57]
	v_fmac_f64_e32 v[62:63], v[14:15], v[54:55]
	v_fmac_f64_e32 v[66:67], v[32:33], v[58:59]
	s_waitcnt vmcnt(4)
	v_mul_f64 v[14:15], v[34:35], v[82:83]
	v_add_f64 v[60:61], v[64:65], v[68:69]
	v_mul_f64 v[4:5], v[20:21], v[72:73]
	v_mul_f64 v[32:33], v[24:25], v[72:73]
	;; [unrolled: 1-line block ×3, first 2 shown]
	v_add_f64 v[28:29], v[16:17], v[64:65]
	v_add_f64 v[72:73], v[62:63], -v[66:67]
	v_fma_f64 v[58:59], v[30:31], v[80:81], -v[14:15]
	v_fma_f64 v[14:15], -0.5, v[60:61], v[16:17]
	v_fma_f64 v[56:57], v[24:25], v[70:71], -v[4:5]
	v_fmac_f64_e32 v[54:55], v[34:35], v[80:81]
	v_add_f64 v[4:5], v[28:29], v[68:69]
	v_fma_f64 v[80:81], s[6:7], v[72:73], v[14:15]
	v_fmac_f64_e32 v[32:33], v[20:21], v[70:71]
	s_waitcnt vmcnt(2)
	v_mul_f64 v[16:17], v[22:23], v[90:91]
	v_mul_f64 v[20:21], v[48:49], v[86:87]
	s_waitcnt vmcnt(1)
	v_mul_f64 v[24:25], v[42:43], v[94:95]
	s_waitcnt vmcnt(0)
	v_mul_f64 v[74:75], v[44:45], v[98:99]
	v_fmac_f64_e32 v[14:15], s[8:9], v[72:73]
	ds_write2_b64 v51, v[4:5], v[80:81] offset1:90
	ds_write_b64 v51, v[14:15] offset:1440
	v_mov_b32_e32 v4, 0x870
	v_mul_f64 v[34:35], v[26:27], v[90:91]
	v_mul_f64 v[60:61], v[0:1], v[86:87]
	;; [unrolled: 1-line block ×4, first 2 shown]
	v_fma_f64 v[70:71], v[26:27], v[88:89], -v[16:17]
	v_fma_f64 v[72:73], v[0:1], v[84:85], -v[20:21]
	;; [unrolled: 1-line block ×4, first 2 shown]
	v_cndmask_b32_e32 v4, 0, v4, vcc
	v_lshlrev_b32_e32 v5, 3, v79
	v_add_f64 v[86:87], v[56:57], v[58:59]
	v_fmac_f64_e32 v[34:35], v[22:23], v[88:89]
	v_fmac_f64_e32 v[60:61], v[48:49], v[84:85]
	;; [unrolled: 1-line block ×4, first 2 shown]
	v_add_f64 v[20:21], v[70:71], v[72:73]
	v_add_f64 v[42:43], v[26:27], v[36:37]
	v_add3_u32 v75, 0, v4, v5
	v_mov_b32_e32 v5, 3
	v_add_f64 v[82:83], v[18:19], v[56:57]
	v_add_f64 v[90:91], v[32:33], -v[54:55]
	v_fmac_f64_e32 v[18:19], -0.5, v[86:87]
	v_add_f64 v[0:1], v[2:3], v[70:71]
	v_add_f64 v[22:23], v[34:35], -v[60:61]
	v_add_f64 v[24:25], v[38:39], v[26:27]
	v_add_f64 v[44:45], v[28:29], -v[30:31]
	v_fmac_f64_e32 v[2:3], -0.5, v[20:21]
	v_fmac_f64_e32 v[38:39], -0.5, v[42:43]
	v_mul_u32_u24_e32 v4, 0x870, v100
	v_lshlrev_b32_sdwa v5, v5, v101 dst_sel:DWORD dst_unused:UNUSED_PAD src0_sel:DWORD src1_sel:BYTE_0
	v_add_f64 v[6:7], v[82:83], v[58:59]
	v_fma_f64 v[16:17], s[6:7], v[90:91], v[18:19]
	v_add_f64 v[48:49], v[0:1], v[72:73]
	v_add_f64 v[0:1], v[24:25], v[36:37]
	v_fma_f64 v[20:21], s[6:7], v[22:23], v[2:3]
	v_fma_f64 v[42:43], s[6:7], v[44:45], v[38:39]
	v_fmac_f64_e32 v[38:39], s[8:9], v[44:45]
	v_add3_u32 v79, 0, v4, v5
	v_lshl_add_u32 v74, v102, 3, 0
	v_fmac_f64_e32 v[18:19], s[8:9], v[90:91]
	v_fmac_f64_e32 v[2:3], s[8:9], v[22:23]
	ds_write2_b64 v75, v[6:7], v[16:17] offset1:90
	ds_write_b64 v75, v[18:19] offset:1440
	ds_write2_b64 v79, v[48:49], v[20:21] offset1:90
	ds_write_b64 v79, v[2:3] offset:1440
	s_and_saveexec_b64 s[6:7], s[0:1]
	s_cbranch_execz .LBB0_31
; %bb.30:
	v_add_u32_e32 v2, 0x1000, v74
	ds_write2_b64 v2, v[0:1], v[42:43] offset0:28 offset1:118
	ds_write_b64 v74, v[38:39] offset:5760
.LBB0_31:
	s_or_b64 exec, exec, s[6:7]
	v_add_u32_e32 v2, 0x400, v51
	s_waitcnt lgkmcnt(0)
	s_barrier
	ds_read2_b64 v[14:17], v2 offset0:34 offset1:142
	v_add_u32_e32 v2, 0x1000, v51
	ds_read2_b64 v[18:21], v2 offset0:28 offset1:109
	v_add_u32_e32 v2, 0x800, v51
	ds_read2_b64 v[4:7], v51 offset1:81
	ds_read2_b64 v[22:25], v2 offset0:95 offset1:176
	ds_read_b64 v[48:49], v51 offset:5616
	s_and_saveexec_b64 s[6:7], s[0:1]
	s_cbranch_execz .LBB0_33
; %bb.32:
	ds_read_b64 v[0:1], v51 offset:1944
	ds_read_b64 v[42:43], v51 offset:4104
	;; [unrolled: 1-line block ×3, first 2 shown]
.LBB0_33:
	s_or_b64 exec, exec, s[6:7]
	v_add_f64 v[2:3], v[8:9], v[62:63]
	v_add_f64 v[80:81], v[2:3], v[66:67]
	;; [unrolled: 1-line block ×3, first 2 shown]
	s_mov_b32 s6, 0xe8584caa
	v_fma_f64 v[8:9], -0.5, v[2:3], v[8:9]
	v_add_f64 v[2:3], v[64:65], -v[68:69]
	s_mov_b32 s7, 0xbfebb67a
	s_mov_b32 s9, 0x3febb67a
	;; [unrolled: 1-line block ×3, first 2 shown]
	v_fma_f64 v[62:63], s[6:7], v[2:3], v[8:9]
	v_fmac_f64_e32 v[8:9], s[8:9], v[2:3]
	v_add_f64 v[2:3], v[10:11], v[32:33]
	v_add_f64 v[64:65], v[2:3], v[54:55]
	;; [unrolled: 1-line block ×3, first 2 shown]
	v_fmac_f64_e32 v[10:11], -0.5, v[2:3]
	v_add_f64 v[2:3], v[56:57], -v[58:59]
	v_fma_f64 v[32:33], s[6:7], v[2:3], v[10:11]
	v_fmac_f64_e32 v[10:11], s[8:9], v[2:3]
	v_add_f64 v[2:3], v[12:13], v[34:35]
	v_add_f64 v[54:55], v[2:3], v[60:61]
	;; [unrolled: 1-line block ×3, first 2 shown]
	v_fmac_f64_e32 v[12:13], -0.5, v[2:3]
	v_add_f64 v[2:3], v[70:71], -v[72:73]
	v_fma_f64 v[34:35], s[6:7], v[2:3], v[12:13]
	v_fmac_f64_e32 v[12:13], s[8:9], v[2:3]
	v_add_f64 v[2:3], v[40:41], v[28:29]
	v_add_f64 v[28:29], v[28:29], v[30:31]
	v_fmac_f64_e32 v[40:41], -0.5, v[28:29]
	v_add_f64 v[26:27], v[26:27], -v[36:37]
	v_add_f64 v[2:3], v[2:3], v[30:31]
	v_fma_f64 v[44:45], s[6:7], v[26:27], v[40:41]
	v_fmac_f64_e32 v[40:41], s[8:9], v[26:27]
	s_waitcnt lgkmcnt(0)
	s_barrier
	ds_write2_b64 v51, v[80:81], v[62:63] offset1:90
	ds_write_b64 v51, v[8:9] offset:1440
	ds_write2_b64 v75, v[64:65], v[32:33] offset1:90
	ds_write_b64 v75, v[10:11] offset:1440
	;; [unrolled: 2-line block ×3, first 2 shown]
	s_and_saveexec_b64 s[6:7], s[0:1]
	s_cbranch_execz .LBB0_35
; %bb.34:
	v_add_u32_e32 v8, 0x1000, v74
	ds_write2_b64 v8, v[2:3], v[44:45] offset0:28 offset1:118
	ds_write_b64 v74, v[40:41] offset:5760
.LBB0_35:
	s_or_b64 exec, exec, s[6:7]
	v_add_u32_e32 v12, 0x400, v51
	s_waitcnt lgkmcnt(0)
	s_barrier
	ds_read2_b64 v[26:29], v12 offset0:34 offset1:142
	v_add_u32_e32 v12, 0x1000, v51
	ds_read2_b64 v[30:33], v12 offset0:28 offset1:109
	v_add_u32_e32 v12, 0x800, v51
	ds_read2_b64 v[8:11], v51 offset1:81
	ds_read2_b64 v[34:37], v12 offset0:95 offset1:176
	ds_read_b64 v[54:55], v51 offset:5616
	s_and_saveexec_b64 s[6:7], s[0:1]
	s_cbranch_execz .LBB0_37
; %bb.36:
	ds_read_b64 v[2:3], v51 offset:1944
	ds_read_b64 v[44:45], v51 offset:4104
	;; [unrolled: 1-line block ×3, first 2 shown]
.LBB0_37:
	s_or_b64 exec, exec, s[6:7]
	s_and_saveexec_b64 s[6:7], s[2:3]
	s_cbranch_execz .LBB0_40
; %bb.38:
	v_lshlrev_b32_e32 v12, 1, v77
	v_mov_b32_e32 v13, 0
	s_mov_b64 s[6:7], 0x10b0
	s_movk_i32 s10, 0x1000
	v_lshl_add_u64 v[64:65], v[12:13], 4, s[4:5]
	v_lshl_add_u64 v[66:67], v[46:47], 0, s[6:7]
	v_add_co_u32_e64 v46, s[2:3], s10, v46
	v_add_co_u32_e32 v74, vcc, 0x1000, v64
	s_nop 0
	v_addc_co_u32_e64 v47, s[2:3], 0, v47, s[2:3]
	v_lshlrev_b32_e32 v12, 1, v78
	global_load_dwordx4 v[56:59], v[46:47], off offset:176
	global_load_dwordx4 v[60:63], v[66:67], off offset:16
	v_addc_co_u32_e32 v75, vcc, 0, v65, vcc
	v_lshl_add_u64 v[46:47], v[12:13], 4, s[4:5]
	v_lshl_add_u64 v[82:83], v[46:47], 0, s[6:7]
	v_add_co_u32_e32 v46, vcc, s10, v46
	v_lshl_add_u64 v[72:73], v[64:65], 0, s[6:7]
	s_nop 0
	v_addc_co_u32_e32 v47, vcc, 0, v47, vcc
	global_load_dwordx4 v[64:67], v[74:75], off offset:176
	global_load_dwordx4 v[68:71], v[72:73], off offset:16
	s_nop 0
	global_load_dwordx4 v[72:75], v[46:47], off offset:176
	global_load_dwordx4 v[78:81], v[82:83], off offset:16
	s_mov_b32 s2, 0xe8584caa
	s_mov_b32 s3, 0x3febb67a
	;; [unrolled: 1-line block ×4, first 2 shown]
	v_mov_b32_e32 v51, v13
	s_waitcnt vmcnt(5) lgkmcnt(4)
	v_mul_f64 v[46:47], v[28:29], v[58:59]
	s_waitcnt vmcnt(4) lgkmcnt(3)
	v_mul_f64 v[82:83], v[30:31], v[62:63]
	v_mul_f64 v[58:59], v[16:17], v[58:59]
	;; [unrolled: 1-line block ×3, first 2 shown]
	v_fma_f64 v[84:85], v[16:17], v[56:57], -v[46:47]
	v_fma_f64 v[82:83], v[18:19], v[60:61], -v[82:83]
	v_fmac_f64_e32 v[58:59], v[28:29], v[56:57]
	v_fmac_f64_e32 v[62:63], v[30:31], v[60:61]
	s_waitcnt vmcnt(3)
	v_mul_f64 v[28:29], v[24:25], v[66:67]
	s_waitcnt vmcnt(2) lgkmcnt(0)
	v_mul_f64 v[18:19], v[54:55], v[70:71]
	v_mul_f64 v[30:31], v[48:49], v[70:71]
	s_waitcnt vmcnt(1)
	v_mul_f64 v[46:47], v[34:35], v[74:75]
	s_waitcnt vmcnt(0)
	v_mul_f64 v[56:57], v[32:33], v[80:81]
	v_mul_f64 v[16:17], v[36:37], v[66:67]
	;; [unrolled: 1-line block ×4, first 2 shown]
	v_fma_f64 v[48:49], v[48:49], v[68:69], -v[18:19]
	v_fmac_f64_e32 v[28:29], v[36:37], v[64:65]
	v_fmac_f64_e32 v[30:31], v[54:55], v[68:69]
	v_fma_f64 v[18:19], v[22:23], v[72:73], -v[46:47]
	v_fma_f64 v[36:37], v[20:21], v[78:79], -v[56:57]
	;; [unrolled: 1-line block ×3, first 2 shown]
	v_fmac_f64_e32 v[60:61], v[34:35], v[72:73]
	v_fmac_f64_e32 v[66:67], v[32:33], v[78:79]
	v_add_f64 v[20:21], v[28:29], v[30:31]
	v_add_f64 v[68:69], v[18:19], v[36:37]
	;; [unrolled: 1-line block ×3, first 2 shown]
	v_add_f64 v[46:47], v[28:29], -v[30:31]
	v_add_f64 v[28:29], v[14:15], v[24:25]
	v_add_f64 v[56:57], v[60:61], v[66:67]
	v_add_f64 v[72:73], v[6:7], v[18:19]
	v_fma_f64 v[20:21], -0.5, v[20:21], v[26:27]
	v_fma_f64 v[26:27], -0.5, v[68:69], v[6:7]
	v_add_f64 v[6:7], v[8:9], v[58:59]
	v_add_f64 v[34:35], v[24:25], -v[48:49]
	v_add_f64 v[32:33], v[24:25], v[48:49]
	v_add_f64 v[24:25], v[22:23], v[30:31]
	;; [unrolled: 1-line block ×3, first 2 shown]
	v_fma_f64 v[28:29], -0.5, v[56:57], v[10:11]
	v_add_f64 v[56:57], v[6:7], v[62:63]
	v_add_f64 v[6:7], v[84:85], v[82:83]
	v_add_f64 v[54:55], v[18:19], -v[36:37]
	v_fma_f64 v[18:19], -0.5, v[32:33], v[14:15]
	v_fma_f64 v[14:15], -0.5, v[6:7], v[4:5]
	v_add_f64 v[4:5], v[4:5], v[84:85]
	v_add_f64 v[74:75], v[58:59], v[62:63]
	v_fma_f64 v[48:49], s[2:3], v[54:55], v[28:29]
	v_fmac_f64_e32 v[28:29], s[8:9], v[54:55]
	v_add_f64 v[6:7], v[58:59], -v[62:63]
	v_add_f64 v[54:55], v[4:5], v[82:83]
	v_lshl_add_u64 v[4:5], v[50:51], 4, v[52:53]
	v_add_f64 v[70:71], v[84:85], -v[82:83]
	v_fma_f64 v[16:17], -0.5, v[74:75], v[8:9]
	v_fma_f64 v[8:9], s[8:9], v[6:7], v[14:15]
	v_fmac_f64_e32 v[14:15], s[2:3], v[6:7]
	v_add_co_u32_e32 v6, vcc, s10, v4
	v_add_f64 v[64:65], v[10:11], v[60:61]
	v_fma_f64 v[10:11], s[2:3], v[70:71], v[16:17]
	v_fmac_f64_e32 v[16:17], s[8:9], v[70:71]
	v_addc_co_u32_e32 v7, vcc, 0, v5, vcc
	s_movk_i32 s10, 0x2000
	global_store_dwordx4 v[6:7], v[14:17], off offset:224
	v_add_f64 v[60:61], v[60:61], -v[66:67]
	v_add_f64 v[32:33], v[64:65], v[66:67]
	v_add_co_u32_e32 v14, vcc, s10, v4
	s_mov_b32 s10, 0xf2b9d649
	s_nop 0
	v_addc_co_u32_e32 v15, vcc, 0, v5, vcc
	v_add_f64 v[30:31], v[72:73], v[36:37]
	v_fma_f64 v[36:37], s[2:3], v[34:35], v[20:21]
	v_fmac_f64_e32 v[20:21], s[8:9], v[34:35]
	v_fma_f64 v[34:35], s[8:9], v[46:47], v[18:19]
	v_fmac_f64_e32 v[18:19], s[2:3], v[46:47]
	;; [unrolled: 2-line block ×3, first 2 shown]
	global_store_dwordx4 v[4:5], v[54:57], off
	global_store_dwordx4 v[14:15], v[8:11], off offset:448
	global_store_dwordx4 v[4:5], v[30:33], off offset:1296
	global_store_dwordx4 v[6:7], v[26:29], off offset:1520
	global_store_dwordx4 v[14:15], v[46:49], off offset:1744
	v_mul_hi_u32 v6, v77, s10
	v_lshrrev_b32_e32 v6, 8, v6
	v_mul_u32_u24_e32 v12, 0x21c, v6
	v_lshl_add_u64 v[6:7], v[12:13], 4, v[4:5]
	v_add_co_u32_e32 v8, vcc, 0x1000, v6
	global_store_dwordx4 v[6:7], v[22:25], off offset:2592
	s_nop 0
	v_addc_co_u32_e32 v9, vcc, 0, v7, vcc
	v_add_co_u32_e32 v6, vcc, 0x2000, v6
	global_store_dwordx4 v[8:9], v[18:21], off offset:2816
	s_nop 0
	v_addc_co_u32_e32 v7, vcc, 0, v7, vcc
	global_store_dwordx4 v[6:7], v[34:37], off offset:3040
	s_and_b64 exec, exec, s[0:1]
	s_cbranch_execz .LBB0_40
; %bb.39:
	v_subrev_u32_e32 v6, 27, v50
	v_cndmask_b32_e64 v6, v6, v76, s[0:1]
	v_lshlrev_b32_e32 v12, 1, v6
	v_lshl_add_u64 v[10:11], v[12:13], 4, s[4:5]
	v_add_co_u32_e32 v6, vcc, 0x1000, v10
	s_nop 1
	v_addc_co_u32_e32 v7, vcc, 0, v11, vcc
	v_lshl_add_u64 v[10:11], v[10:11], 0, s[6:7]
	global_load_dwordx4 v[6:9], v[6:7], off offset:176
	v_add_co_u32_e32 v14, vcc, 0x2000, v4
	global_load_dwordx4 v[10:13], v[10:11], off offset:16
	s_nop 0
	v_addc_co_u32_e32 v15, vcc, 0, v5, vcc
	v_add_co_u32_e32 v16, vcc, 0x3000, v4
	s_waitcnt vmcnt(1)
	v_mul_f64 v[18:19], v[44:45], v[8:9]
	v_mul_f64 v[8:9], v[42:43], v[8:9]
	v_fma_f64 v[18:19], v[42:43], v[6:7], -v[18:19]
	s_waitcnt vmcnt(0)
	v_mul_f64 v[20:21], v[40:41], v[12:13]
	v_mul_f64 v[12:13], v[38:39], v[12:13]
	v_fmac_f64_e32 v[8:9], v[44:45], v[6:7]
	v_fma_f64 v[6:7], v[38:39], v[10:11], -v[20:21]
	v_fmac_f64_e32 v[12:13], v[40:41], v[10:11]
	v_add_f64 v[10:11], v[0:1], v[18:19]
	v_add_f64 v[20:21], v[18:19], v[6:7]
	;; [unrolled: 1-line block ×4, first 2 shown]
	v_add_f64 v[22:23], v[8:9], -v[12:13]
	v_add_f64 v[18:19], v[18:19], -v[6:7]
	v_add_f64 v[6:7], v[10:11], v[6:7]
	v_fmac_f64_e32 v[0:1], -0.5, v[20:21]
	v_add_f64 v[8:9], v[24:25], v[12:13]
	v_fmac_f64_e32 v[2:3], -0.5, v[26:27]
	v_addc_co_u32_e32 v17, vcc, 0, v5, vcc
	v_fma_f64 v[10:11], s[2:3], v[22:23], v[0:1]
	v_fmac_f64_e32 v[0:1], s[8:9], v[22:23]
	v_fma_f64 v[12:13], s[8:9], v[18:19], v[2:3]
	v_fmac_f64_e32 v[2:3], s[2:3], v[18:19]
	global_store_dwordx4 v[4:5], v[6:9], off offset:3888
	global_store_dwordx4 v[14:15], v[10:13], off offset:16
	;; [unrolled: 1-line block ×3, first 2 shown]
.LBB0_40:
	s_endpgm
	.section	.rodata,"a",@progbits
	.p2align	6, 0x0
	.amdhsa_kernel fft_rtc_fwd_len810_factors_3_10_3_3_3_wgs_81_tpt_81_halfLds_dp_ip_CI_unitstride_sbrr_dirReg
		.amdhsa_group_segment_fixed_size 0
		.amdhsa_private_segment_fixed_size 0
		.amdhsa_kernarg_size 88
		.amdhsa_user_sgpr_count 2
		.amdhsa_user_sgpr_dispatch_ptr 0
		.amdhsa_user_sgpr_queue_ptr 0
		.amdhsa_user_sgpr_kernarg_segment_ptr 1
		.amdhsa_user_sgpr_dispatch_id 0
		.amdhsa_user_sgpr_kernarg_preload_length 0
		.amdhsa_user_sgpr_kernarg_preload_offset 0
		.amdhsa_user_sgpr_private_segment_size 0
		.amdhsa_uses_dynamic_stack 0
		.amdhsa_enable_private_segment 0
		.amdhsa_system_sgpr_workgroup_id_x 1
		.amdhsa_system_sgpr_workgroup_id_y 0
		.amdhsa_system_sgpr_workgroup_id_z 0
		.amdhsa_system_sgpr_workgroup_info 0
		.amdhsa_system_vgpr_workitem_id 0
		.amdhsa_next_free_vgpr 114
		.amdhsa_next_free_sgpr 22
		.amdhsa_accum_offset 116
		.amdhsa_reserve_vcc 1
		.amdhsa_float_round_mode_32 0
		.amdhsa_float_round_mode_16_64 0
		.amdhsa_float_denorm_mode_32 3
		.amdhsa_float_denorm_mode_16_64 3
		.amdhsa_dx10_clamp 1
		.amdhsa_ieee_mode 1
		.amdhsa_fp16_overflow 0
		.amdhsa_tg_split 0
		.amdhsa_exception_fp_ieee_invalid_op 0
		.amdhsa_exception_fp_denorm_src 0
		.amdhsa_exception_fp_ieee_div_zero 0
		.amdhsa_exception_fp_ieee_overflow 0
		.amdhsa_exception_fp_ieee_underflow 0
		.amdhsa_exception_fp_ieee_inexact 0
		.amdhsa_exception_int_div_zero 0
	.end_amdhsa_kernel
	.text
.Lfunc_end0:
	.size	fft_rtc_fwd_len810_factors_3_10_3_3_3_wgs_81_tpt_81_halfLds_dp_ip_CI_unitstride_sbrr_dirReg, .Lfunc_end0-fft_rtc_fwd_len810_factors_3_10_3_3_3_wgs_81_tpt_81_halfLds_dp_ip_CI_unitstride_sbrr_dirReg
                                        ; -- End function
	.section	.AMDGPU.csdata,"",@progbits
; Kernel info:
; codeLenInByte = 7840
; NumSgprs: 28
; NumVgprs: 114
; NumAgprs: 0
; TotalNumVgprs: 114
; ScratchSize: 0
; MemoryBound: 1
; FloatMode: 240
; IeeeMode: 1
; LDSByteSize: 0 bytes/workgroup (compile time only)
; SGPRBlocks: 3
; VGPRBlocks: 14
; NumSGPRsForWavesPerEU: 28
; NumVGPRsForWavesPerEU: 114
; AccumOffset: 116
; Occupancy: 4
; WaveLimiterHint : 1
; COMPUTE_PGM_RSRC2:SCRATCH_EN: 0
; COMPUTE_PGM_RSRC2:USER_SGPR: 2
; COMPUTE_PGM_RSRC2:TRAP_HANDLER: 0
; COMPUTE_PGM_RSRC2:TGID_X_EN: 1
; COMPUTE_PGM_RSRC2:TGID_Y_EN: 0
; COMPUTE_PGM_RSRC2:TGID_Z_EN: 0
; COMPUTE_PGM_RSRC2:TIDIG_COMP_CNT: 0
; COMPUTE_PGM_RSRC3_GFX90A:ACCUM_OFFSET: 28
; COMPUTE_PGM_RSRC3_GFX90A:TG_SPLIT: 0
	.text
	.p2alignl 6, 3212836864
	.fill 256, 4, 3212836864
	.type	__hip_cuid_110781d8da73fbdd,@object ; @__hip_cuid_110781d8da73fbdd
	.section	.bss,"aw",@nobits
	.globl	__hip_cuid_110781d8da73fbdd
__hip_cuid_110781d8da73fbdd:
	.byte	0                               ; 0x0
	.size	__hip_cuid_110781d8da73fbdd, 1

	.ident	"AMD clang version 19.0.0git (https://github.com/RadeonOpenCompute/llvm-project roc-6.4.0 25133 c7fe45cf4b819c5991fe208aaa96edf142730f1d)"
	.section	".note.GNU-stack","",@progbits
	.addrsig
	.addrsig_sym __hip_cuid_110781d8da73fbdd
	.amdgpu_metadata
---
amdhsa.kernels:
  - .agpr_count:     0
    .args:
      - .actual_access:  read_only
        .address_space:  global
        .offset:         0
        .size:           8
        .value_kind:     global_buffer
      - .offset:         8
        .size:           8
        .value_kind:     by_value
      - .actual_access:  read_only
        .address_space:  global
        .offset:         16
        .size:           8
        .value_kind:     global_buffer
      - .actual_access:  read_only
        .address_space:  global
        .offset:         24
        .size:           8
        .value_kind:     global_buffer
      - .offset:         32
        .size:           8
        .value_kind:     by_value
      - .actual_access:  read_only
        .address_space:  global
        .offset:         40
        .size:           8
        .value_kind:     global_buffer
      - .actual_access:  read_only
        .address_space:  global
        .offset:         48
        .size:           8
        .value_kind:     global_buffer
      - .offset:         56
        .size:           4
        .value_kind:     by_value
      - .actual_access:  read_only
        .address_space:  global
        .offset:         64
        .size:           8
        .value_kind:     global_buffer
      - .actual_access:  read_only
        .address_space:  global
        .offset:         72
        .size:           8
        .value_kind:     global_buffer
      - .address_space:  global
        .offset:         80
        .size:           8
        .value_kind:     global_buffer
    .group_segment_fixed_size: 0
    .kernarg_segment_align: 8
    .kernarg_segment_size: 88
    .language:       OpenCL C
    .language_version:
      - 2
      - 0
    .max_flat_workgroup_size: 81
    .name:           fft_rtc_fwd_len810_factors_3_10_3_3_3_wgs_81_tpt_81_halfLds_dp_ip_CI_unitstride_sbrr_dirReg
    .private_segment_fixed_size: 0
    .sgpr_count:     28
    .sgpr_spill_count: 0
    .symbol:         fft_rtc_fwd_len810_factors_3_10_3_3_3_wgs_81_tpt_81_halfLds_dp_ip_CI_unitstride_sbrr_dirReg.kd
    .uniform_work_group_size: 1
    .uses_dynamic_stack: false
    .vgpr_count:     114
    .vgpr_spill_count: 0
    .wavefront_size: 64
amdhsa.target:   amdgcn-amd-amdhsa--gfx950
amdhsa.version:
  - 1
  - 2
...

	.end_amdgpu_metadata
